;; amdgpu-corpus repo=ROCm/rocFFT kind=compiled arch=gfx906 opt=O3
	.text
	.amdgcn_target "amdgcn-amd-amdhsa--gfx906"
	.amdhsa_code_object_version 6
	.protected	fft_rtc_fwd_len96_factors_8_3_4_wgs_256_tpt_32_dp_ip_CI_sbcc_twdbase8_2step_dirReg ; -- Begin function fft_rtc_fwd_len96_factors_8_3_4_wgs_256_tpt_32_dp_ip_CI_sbcc_twdbase8_2step_dirReg
	.globl	fft_rtc_fwd_len96_factors_8_3_4_wgs_256_tpt_32_dp_ip_CI_sbcc_twdbase8_2step_dirReg
	.p2align	8
	.type	fft_rtc_fwd_len96_factors_8_3_4_wgs_256_tpt_32_dp_ip_CI_sbcc_twdbase8_2step_dirReg,@function
fft_rtc_fwd_len96_factors_8_3_4_wgs_256_tpt_32_dp_ip_CI_sbcc_twdbase8_2step_dirReg: ; @fft_rtc_fwd_len96_factors_8_3_4_wgs_256_tpt_32_dp_ip_CI_sbcc_twdbase8_2step_dirReg
; %bb.0:
	s_load_dwordx4 s[0:3], s[4:5], 0x18
	s_mov_b32 s7, 0
	s_mov_b64 s[24:25], 0
	s_waitcnt lgkmcnt(0)
	s_load_dwordx2 s[20:21], s[0:1], 0x8
	s_waitcnt lgkmcnt(0)
	s_add_u32 s8, s20, -1
	s_addc_u32 s9, s21, -1
	s_lshr_b64 s[8:9], s[8:9], 3
	s_add_u32 s22, s8, 1
	s_addc_u32 s23, s9, 0
	v_mov_b32_e32 v1, s22
	v_mov_b32_e32 v2, s23
	v_cmp_lt_u64_e32 vcc, s[6:7], v[1:2]
	s_cbranch_vccnz .LBB0_2
; %bb.1:
	v_cvt_f32_u32_e32 v1, s22
	s_sub_i32 s8, 0, s22
	s_mov_b32 s25, s7
	v_rcp_iflag_f32_e32 v1, v1
	v_mul_f32_e32 v1, 0x4f7ffffe, v1
	v_cvt_u32_f32_e32 v1, v1
	v_readfirstlane_b32 s9, v1
	s_mul_i32 s8, s8, s9
	s_mul_hi_u32 s8, s9, s8
	s_add_i32 s9, s9, s8
	s_mul_hi_u32 s8, s6, s9
	s_mul_i32 s10, s8, s22
	s_sub_i32 s10, s6, s10
	s_add_i32 s9, s8, 1
	s_sub_i32 s11, s10, s22
	s_cmp_ge_u32 s10, s22
	s_cselect_b32 s8, s9, s8
	s_cselect_b32 s10, s11, s10
	s_add_i32 s9, s8, 1
	s_cmp_ge_u32 s10, s22
	s_cselect_b32 s24, s9, s8
.LBB0_2:
	s_load_dwordx2 s[16:17], s[4:5], 0x58
	s_load_dwordx4 s[8:11], s[2:3], 0x0
	s_load_dwordx2 s[18:19], s[4:5], 0x0
	s_load_dwordx4 s[12:15], s[4:5], 0x8
	s_mul_i32 s4, s24, s23
	s_mul_hi_u32 s5, s24, s22
	s_add_i32 s5, s5, s4
	s_mul_i32 s4, s24, s22
	s_sub_u32 s26, s6, s4
	s_subb_u32 s27, 0, s5
	v_mov_b32_e32 v1, s26
	v_alignbit_b32 v1, s27, v1, 29
	s_lshl_b64 s[4:5], s[26:27], 3
	v_readfirstlane_b32 s26, v1
	s_waitcnt lgkmcnt(0)
	s_mul_i32 s26, s10, s26
	s_mul_hi_u32 s27, s10, s4
	s_add_i32 s26, s27, s26
	s_mul_i32 s27, s11, s4
	s_add_i32 s33, s26, s27
	v_cmp_lt_u64_e64 s[26:27], s[14:15], 3
	s_mul_i32 s40, s10, s4
	s_and_b64 vcc, exec, s[26:27]
	s_cbranch_vccnz .LBB0_12
; %bb.3:
	s_add_u32 s26, s2, 16
	s_addc_u32 s27, s3, 0
	s_add_u32 s28, s0, 16
	v_mov_b32_e32 v1, s14
	s_addc_u32 s29, s1, 0
	s_mov_b64 s[30:31], 2
	s_mov_b32 s34, 0
	v_mov_b32_e32 v2, s15
.LBB0_4:                                ; =>This Inner Loop Header: Depth=1
	s_load_dwordx2 s[36:37], s[28:29], 0x0
	s_waitcnt lgkmcnt(0)
	s_or_b64 s[0:1], s[24:25], s[36:37]
	s_mov_b32 s35, s1
	s_cmp_lg_u64 s[34:35], 0
	s_cbranch_scc0 .LBB0_9
; %bb.5:                                ;   in Loop: Header=BB0_4 Depth=1
	v_cvt_f32_u32_e32 v3, s36
	v_cvt_f32_u32_e32 v4, s37
	s_sub_u32 s0, 0, s36
	s_subb_u32 s1, 0, s37
	v_mac_f32_e32 v3, 0x4f800000, v4
	v_rcp_f32_e32 v3, v3
	v_mul_f32_e32 v3, 0x5f7ffffc, v3
	v_mul_f32_e32 v4, 0x2f800000, v3
	v_trunc_f32_e32 v4, v4
	v_mac_f32_e32 v3, 0xcf800000, v4
	v_cvt_u32_f32_e32 v4, v4
	v_cvt_u32_f32_e32 v3, v3
	v_readfirstlane_b32 s35, v4
	v_readfirstlane_b32 s38, v3
	s_mul_i32 s39, s0, s35
	s_mul_hi_u32 s42, s0, s38
	s_mul_i32 s41, s1, s38
	s_add_i32 s39, s42, s39
	s_mul_i32 s43, s0, s38
	s_add_i32 s39, s39, s41
	s_mul_hi_u32 s41, s38, s39
	s_mul_i32 s42, s38, s39
	s_mul_hi_u32 s38, s38, s43
	s_add_u32 s38, s38, s42
	s_addc_u32 s41, 0, s41
	s_mul_hi_u32 s44, s35, s43
	s_mul_i32 s43, s35, s43
	s_add_u32 s38, s38, s43
	s_mul_hi_u32 s42, s35, s39
	s_addc_u32 s38, s41, s44
	s_addc_u32 s41, s42, 0
	s_mul_i32 s39, s35, s39
	s_add_u32 s38, s38, s39
	s_addc_u32 s39, 0, s41
	v_add_co_u32_e32 v3, vcc, s38, v3
	s_cmp_lg_u64 vcc, 0
	s_addc_u32 s35, s35, s39
	v_readfirstlane_b32 s39, v3
	s_mul_i32 s38, s0, s35
	s_mul_hi_u32 s41, s0, s39
	s_add_i32 s38, s41, s38
	s_mul_i32 s1, s1, s39
	s_add_i32 s38, s38, s1
	s_mul_i32 s0, s0, s39
	s_mul_hi_u32 s41, s35, s0
	s_mul_i32 s42, s35, s0
	s_mul_i32 s44, s39, s38
	s_mul_hi_u32 s0, s39, s0
	s_mul_hi_u32 s43, s39, s38
	s_add_u32 s0, s0, s44
	s_addc_u32 s39, 0, s43
	s_add_u32 s0, s0, s42
	s_mul_hi_u32 s1, s35, s38
	s_addc_u32 s0, s39, s41
	s_addc_u32 s1, s1, 0
	s_mul_i32 s38, s35, s38
	s_add_u32 s0, s0, s38
	s_addc_u32 s1, 0, s1
	v_add_co_u32_e32 v3, vcc, s0, v3
	s_cmp_lg_u64 vcc, 0
	s_addc_u32 s0, s35, s1
	v_readfirstlane_b32 s38, v3
	s_mul_i32 s35, s24, s0
	s_mul_hi_u32 s39, s24, s38
	s_mul_hi_u32 s1, s24, s0
	s_add_u32 s35, s39, s35
	s_addc_u32 s1, 0, s1
	s_mul_hi_u32 s41, s25, s38
	s_mul_i32 s38, s25, s38
	s_add_u32 s35, s35, s38
	s_mul_hi_u32 s39, s25, s0
	s_addc_u32 s1, s1, s41
	s_addc_u32 s35, s39, 0
	s_mul_i32 s0, s25, s0
	s_add_u32 s38, s1, s0
	s_addc_u32 s35, 0, s35
	s_mul_i32 s0, s36, s35
	s_mul_hi_u32 s1, s36, s38
	s_add_i32 s0, s1, s0
	s_mul_i32 s1, s37, s38
	s_add_i32 s39, s0, s1
	s_mul_i32 s1, s36, s38
	v_mov_b32_e32 v3, s1
	s_sub_i32 s0, s25, s39
	v_sub_co_u32_e32 v3, vcc, s24, v3
	s_cmp_lg_u64 vcc, 0
	s_subb_u32 s41, s0, s37
	v_subrev_co_u32_e64 v4, s[0:1], s36, v3
	s_cmp_lg_u64 s[0:1], 0
	s_subb_u32 s0, s41, 0
	s_cmp_ge_u32 s0, s37
	v_readfirstlane_b32 s41, v4
	s_cselect_b32 s1, -1, 0
	s_cmp_ge_u32 s41, s36
	s_cselect_b32 s41, -1, 0
	s_cmp_eq_u32 s0, s37
	s_cselect_b32 s0, s41, s1
	s_add_u32 s1, s38, 1
	s_addc_u32 s41, s35, 0
	s_add_u32 s42, s38, 2
	s_addc_u32 s43, s35, 0
	s_cmp_lg_u32 s0, 0
	s_cselect_b32 s0, s42, s1
	s_cselect_b32 s1, s43, s41
	s_cmp_lg_u64 vcc, 0
	s_subb_u32 s39, s25, s39
	s_cmp_ge_u32 s39, s37
	v_readfirstlane_b32 s42, v3
	s_cselect_b32 s41, -1, 0
	s_cmp_ge_u32 s42, s36
	s_cselect_b32 s42, -1, 0
	s_cmp_eq_u32 s39, s37
	s_cselect_b32 s39, s42, s41
	s_cmp_lg_u32 s39, 0
	s_cselect_b32 s1, s1, s35
	s_cselect_b32 s0, s0, s38
	s_cbranch_execnz .LBB0_7
.LBB0_6:                                ;   in Loop: Header=BB0_4 Depth=1
	v_cvt_f32_u32_e32 v3, s36
	s_sub_i32 s0, 0, s36
	v_rcp_iflag_f32_e32 v3, v3
	v_mul_f32_e32 v3, 0x4f7ffffe, v3
	v_cvt_u32_f32_e32 v3, v3
	v_readfirstlane_b32 s1, v3
	s_mul_i32 s0, s0, s1
	s_mul_hi_u32 s0, s1, s0
	s_add_i32 s1, s1, s0
	s_mul_hi_u32 s0, s24, s1
	s_mul_i32 s35, s0, s36
	s_sub_i32 s35, s24, s35
	s_add_i32 s1, s0, 1
	s_sub_i32 s38, s35, s36
	s_cmp_ge_u32 s35, s36
	s_cselect_b32 s0, s1, s0
	s_cselect_b32 s35, s38, s35
	s_add_i32 s1, s0, 1
	s_cmp_ge_u32 s35, s36
	s_cselect_b32 s0, s1, s0
	s_mov_b32 s1, s34
.LBB0_7:                                ;   in Loop: Header=BB0_4 Depth=1
	s_mul_i32 s23, s36, s23
	s_mul_hi_u32 s35, s36, s22
	s_add_i32 s23, s35, s23
	s_mul_i32 s35, s37, s22
	s_add_i32 s23, s23, s35
	s_mul_i32 s35, s0, s37
	s_mul_hi_u32 s37, s0, s36
	s_load_dwordx2 s[38:39], s[26:27], 0x0
	s_add_i32 s35, s37, s35
	s_mul_i32 s37, s1, s36
	s_mul_i32 s22, s36, s22
	s_add_i32 s35, s35, s37
	s_mul_i32 s36, s0, s36
	s_sub_u32 s24, s24, s36
	s_subb_u32 s25, s25, s35
	s_waitcnt lgkmcnt(0)
	s_mul_i32 s25, s38, s25
	s_mul_hi_u32 s35, s38, s24
	s_add_i32 s25, s35, s25
	s_mul_i32 s35, s39, s24
	s_add_i32 s25, s25, s35
	s_mul_i32 s24, s38, s24
	s_add_u32 s40, s24, s40
	s_addc_u32 s33, s25, s33
	s_add_u32 s30, s30, 1
	s_addc_u32 s31, s31, 0
	;; [unrolled: 2-line block ×3, first 2 shown]
	v_cmp_ge_u64_e32 vcc, s[30:31], v[1:2]
	s_add_u32 s28, s28, 8
	s_addc_u32 s29, s29, 0
	s_cbranch_vccnz .LBB0_10
; %bb.8:                                ;   in Loop: Header=BB0_4 Depth=1
	s_mov_b64 s[24:25], s[0:1]
	s_branch .LBB0_4
.LBB0_9:                                ;   in Loop: Header=BB0_4 Depth=1
                                        ; implicit-def: $sgpr0_sgpr1
	s_branch .LBB0_6
.LBB0_10:
	v_mov_b32_e32 v1, s22
	v_mov_b32_e32 v2, s23
	v_cmp_lt_u64_e32 vcc, s[6:7], v[1:2]
	s_mov_b64 s[24:25], 0
	s_cbranch_vccnz .LBB0_12
; %bb.11:
	v_cvt_f32_u32_e32 v1, s22
	s_sub_i32 s0, 0, s22
	v_rcp_iflag_f32_e32 v1, v1
	v_mul_f32_e32 v1, 0x4f7ffffe, v1
	v_cvt_u32_f32_e32 v1, v1
	v_readfirstlane_b32 s1, v1
	s_mul_i32 s0, s0, s1
	s_mul_hi_u32 s0, s1, s0
	s_add_i32 s1, s1, s0
	s_mul_hi_u32 s0, s6, s1
	s_mul_i32 s7, s0, s22
	s_sub_i32 s6, s6, s7
	s_add_i32 s1, s0, 1
	s_sub_i32 s7, s6, s22
	s_cmp_ge_u32 s6, s22
	s_cselect_b32 s0, s1, s0
	s_cselect_b32 s6, s7, s6
	s_add_i32 s1, s0, 1
	s_cmp_ge_u32 s6, s22
	s_cselect_b32 s24, s1, s0
.LBB0_12:
	s_lshl_b64 s[0:1], s[14:15], 3
	s_add_u32 s0, s2, s0
	s_addc_u32 s1, s3, s1
	s_load_dwordx2 s[0:1], s[0:1], 0x0
	v_mov_b32_e32 v1, s20
	v_mov_b32_e32 v2, s21
	v_lshrrev_b32_e32 v50, 3, v0
	v_and_b32_e32 v52, 7, v0
	s_waitcnt lgkmcnt(0)
	s_mul_i32 s1, s1, s24
	s_mul_hi_u32 s2, s0, s24
	s_mul_i32 s0, s0, s24
	s_add_i32 s2, s2, s1
	s_add_u32 s6, s0, s40
	s_addc_u32 s7, s2, s33
	s_add_u32 s0, s4, 8
	s_addc_u32 s1, s5, 0
	v_cmp_le_u64_e32 vcc, s[0:1], v[1:2]
	s_movk_i32 s0, 0x60
	v_cmp_gt_u32_e64 s[2:3], s0, v0
	s_and_b64 s[0:1], s[2:3], vcc
	v_add_u32_e32 v38, 12, v50
	v_add_u32_e32 v51, 24, v50
	;; [unrolled: 1-line block ×3, first 2 shown]
	v_or_b32_e32 v36, 48, v50
	v_add_u32_e32 v35, 60, v50
                                        ; implicit-def: $vgpr7_vgpr8
                                        ; implicit-def: $vgpr15_vgpr16
                                        ; implicit-def: $vgpr19_vgpr20
                                        ; implicit-def: $vgpr3_vgpr4
                                        ; implicit-def: $vgpr27_vgpr28
                                        ; implicit-def: $vgpr31_vgpr32
                                        ; implicit-def: $vgpr23_vgpr24
                                        ; implicit-def: $vgpr11_vgpr12
	s_and_saveexec_b64 s[14:15], s[0:1]
	s_cbranch_execz .LBB0_14
; %bb.13:
	v_mad_u64_u32 v[1:2], s[0:1], s10, v52, 0
	v_mad_u64_u32 v[3:4], s[0:1], s8, v50, 0
	;; [unrolled: 1-line block ×3, first 2 shown]
	v_mov_b32_e32 v2, v4
	v_mad_u64_u32 v[6:7], s[0:1], s9, v50, v[2:3]
	s_lshl_b64 s[0:1], s[6:7], 4
	s_add_u32 s22, s16, s0
	s_addc_u32 s0, s17, s1
	v_mov_b32_e32 v2, v5
	v_mov_b32_e32 v4, v6
	;; [unrolled: 1-line block ×3, first 2 shown]
	v_mad_u64_u32 v[5:6], s[0:1], s8, v38, 0
	v_lshlrev_b64 v[1:2], 4, v[1:2]
	v_add_co_u32_e64 v9, s[0:1], s22, v1
	v_addc_co_u32_e64 v10, s[0:1], v7, v2, s[0:1]
	v_lshlrev_b64 v[1:2], 4, v[3:4]
	v_mov_b32_e32 v3, v6
	v_mad_u64_u32 v[3:4], s[0:1], s9, v38, v[3:4]
	v_mad_u64_u32 v[7:8], s[0:1], s8, v51, 0
	v_add_co_u32_e64 v33, s[0:1], v9, v1
	v_mov_b32_e32 v6, v3
	v_mov_b32_e32 v3, v8
	v_addc_co_u32_e64 v34, s[0:1], v10, v2, s[0:1]
	v_mad_u64_u32 v[3:4], s[0:1], s9, v51, v[3:4]
	v_lshlrev_b64 v[1:2], 4, v[5:6]
	v_mad_u64_u32 v[4:5], s[0:1], s8, v37, 0
	v_add_co_u32_e64 v39, s[0:1], v9, v1
	v_mov_b32_e32 v8, v3
	v_mov_b32_e32 v3, v5
	v_addc_co_u32_e64 v40, s[0:1], v10, v2, s[0:1]
	v_mad_u64_u32 v[5:6], s[0:1], s9, v37, v[3:4]
	v_lshlrev_b64 v[1:2], 4, v[7:8]
	v_mad_u64_u32 v[6:7], s[0:1], s8, v36, 0
	v_add_co_u32_e64 v41, s[0:1], v9, v1
	v_mov_b32_e32 v3, v7
	v_addc_co_u32_e64 v42, s[0:1], v10, v2, s[0:1]
	v_lshlrev_b64 v[1:2], 4, v[4:5]
	v_mad_u64_u32 v[3:4], s[0:1], s9, v36, v[3:4]
	v_mad_u64_u32 v[4:5], s[0:1], s8, v35, 0
	v_add_co_u32_e64 v43, s[0:1], v9, v1
	v_mov_b32_e32 v7, v3
	v_mov_b32_e32 v3, v5
	v_addc_co_u32_e64 v44, s[0:1], v10, v2, s[0:1]
	v_lshlrev_b64 v[1:2], 4, v[6:7]
	v_mad_u64_u32 v[5:6], s[0:1], s9, v35, v[3:4]
	v_add_u32_e32 v8, 0x48, v50
	v_mad_u64_u32 v[6:7], s[0:1], s8, v8, 0
	v_add_co_u32_e64 v45, s[0:1], v9, v1
	v_mov_b32_e32 v3, v7
	v_addc_co_u32_e64 v46, s[0:1], v10, v2, s[0:1]
	v_lshlrev_b64 v[1:2], 4, v[4:5]
	v_mad_u64_u32 v[3:4], s[0:1], s9, v8, v[3:4]
	v_add_u32_e32 v8, 0x54, v50
	v_mad_u64_u32 v[4:5], s[0:1], s8, v8, 0
	v_add_co_u32_e64 v47, s[0:1], v9, v1
	v_mov_b32_e32 v7, v3
	v_mov_b32_e32 v3, v5
	v_addc_co_u32_e64 v48, s[0:1], v10, v2, s[0:1]
	v_lshlrev_b64 v[1:2], 4, v[6:7]
	v_mad_u64_u32 v[5:6], s[0:1], s9, v8, v[3:4]
	v_add_co_u32_e64 v53, s[0:1], v9, v1
	v_addc_co_u32_e64 v54, s[0:1], v10, v2, s[0:1]
	v_lshlrev_b64 v[1:2], 4, v[4:5]
	v_add_co_u32_e64 v55, s[0:1], v9, v1
	v_addc_co_u32_e64 v56, s[0:1], v10, v2, s[0:1]
	global_load_dwordx4 v[9:12], v[33:34], off
	global_load_dwordx4 v[5:8], v[39:40], off
	;; [unrolled: 1-line block ×8, first 2 shown]
.LBB0_14:
	s_or_b64 exec, exec, s[14:15]
	v_mov_b32_e32 v34, s5
	v_or_b32_e32 v33, s4, v52
	v_cmp_gt_u64_e64 s[0:1], s[20:21], v[33:34]
	s_xor_b64 s[14:15], vcc, -1
	s_and_b64 s[4:5], s[2:3], s[0:1]
	s_and_b64 s[4:5], s[14:15], s[4:5]
	s_and_saveexec_b64 s[20:21], s[4:5]
	s_cbranch_execz .LBB0_16
; %bb.15:
	s_waitcnt vmcnt(3)
	v_mad_u64_u32 v[1:2], s[4:5], s10, v52, 0
	v_mad_u64_u32 v[3:4], s[4:5], s8, v50, 0
	;; [unrolled: 1-line block ×3, first 2 shown]
	v_mov_b32_e32 v2, v4
	v_mad_u64_u32 v[6:7], s[4:5], s9, v50, v[2:3]
	s_lshl_b64 s[4:5], s[6:7], 4
	s_add_u32 s22, s16, s4
	s_addc_u32 s4, s17, s5
	v_mov_b32_e32 v2, v5
	v_mov_b32_e32 v4, v6
	;; [unrolled: 1-line block ×3, first 2 shown]
	v_mad_u64_u32 v[5:6], s[4:5], s8, v38, 0
	v_lshlrev_b64 v[1:2], 4, v[1:2]
	v_add_co_u32_e64 v39, s[4:5], s22, v1
	v_addc_co_u32_e64 v40, s[4:5], v7, v2, s[4:5]
	v_lshlrev_b64 v[1:2], 4, v[3:4]
	v_mov_b32_e32 v3, v6
	v_mad_u64_u32 v[3:4], s[4:5], s9, v38, v[3:4]
	v_add_co_u32_e64 v1, s[4:5], v39, v1
	v_addc_co_u32_e64 v2, s[4:5], v40, v2, s[4:5]
	v_mad_u64_u32 v[13:14], s[4:5], s8, v51, 0
	v_mov_b32_e32 v6, v3
	v_lshlrev_b64 v[3:4], 4, v[5:6]
	v_mov_b32_e32 v5, v14
	v_add_co_u32_e64 v3, s[4:5], v39, v3
	v_addc_co_u32_e64 v4, s[4:5], v40, v4, s[4:5]
	v_mad_u64_u32 v[14:15], s[4:5], s9, v51, v[5:6]
	v_mad_u64_u32 v[15:16], s[4:5], s8, v37, 0
	global_load_dwordx4 v[9:12], v[1:2], off
	global_load_dwordx4 v[5:8], v[3:4], off
	v_lshlrev_b64 v[1:2], 4, v[13:14]
	v_mov_b32_e32 v3, v16
	v_mad_u64_u32 v[3:4], s[4:5], s9, v37, v[3:4]
	v_add_co_u32_e64 v1, s[4:5], v39, v1
	v_addc_co_u32_e64 v2, s[4:5], v40, v2, s[4:5]
	s_waitcnt vmcnt(4)
	v_mad_u64_u32 v[21:22], s[4:5], s8, v36, 0
	v_mov_b32_e32 v16, v3
	v_lshlrev_b64 v[3:4], 4, v[15:16]
	v_mov_b32_e32 v13, v22
	v_add_co_u32_e64 v3, s[4:5], v39, v3
	v_addc_co_u32_e64 v4, s[4:5], v40, v4, s[4:5]
	v_mad_u64_u32 v[22:23], s[4:5], s9, v36, v[13:14]
	v_mad_u64_u32 v[23:24], s[4:5], s8, v35, 0
	global_load_dwordx4 v[13:16], v[1:2], off
	global_load_dwordx4 v[17:20], v[3:4], off
	v_lshlrev_b64 v[1:2], 4, v[21:22]
	v_mov_b32_e32 v3, v24
	v_mad_u64_u32 v[3:4], s[4:5], s9, v35, v[3:4]
	s_waitcnt vmcnt(5)
	v_add_co_u32_e64 v25, s[4:5], v39, v1
	v_mov_b32_e32 v24, v3
	v_add_u32_e32 v3, 0x48, v50
	v_addc_co_u32_e64 v26, s[4:5], v40, v2, s[4:5]
	v_mad_u64_u32 v[27:28], s[4:5], s8, v3, 0
	v_lshlrev_b64 v[1:2], 4, v[23:24]
	s_waitcnt vmcnt(4)
	v_add_co_u32_e64 v29, s[4:5], v39, v1
	v_mov_b32_e32 v1, v28
	v_addc_co_u32_e64 v30, s[4:5], v40, v2, s[4:5]
	v_mad_u64_u32 v[31:32], s[4:5], s9, v3, v[1:2]
	v_add_u32_e32 v32, 0x54, v50
	v_mad_u64_u32 v[34:35], s[4:5], s8, v32, 0
	v_mov_b32_e32 v28, v31
	global_load_dwordx4 v[1:4], v[25:26], off
	global_load_dwordx4 v[21:24], v[29:30], off
	v_lshlrev_b64 v[25:26], 4, v[27:28]
	v_mov_b32_e32 v27, v35
	v_mad_u64_u32 v[27:28], s[4:5], s9, v32, v[27:28]
	v_add_co_u32_e64 v36, s[4:5], v39, v25
	v_mov_b32_e32 v35, v27
	v_addc_co_u32_e64 v37, s[4:5], v40, v26, s[4:5]
	v_lshlrev_b64 v[25:26], 4, v[34:35]
	v_add_co_u32_e64 v34, s[4:5], v39, v25
	v_addc_co_u32_e64 v35, s[4:5], v40, v26, s[4:5]
	global_load_dwordx4 v[25:28], v[36:37], off
	global_load_dwordx4 v[29:32], v[34:35], off
.LBB0_16:
	s_or_b64 exec, exec, s[20:21]
	s_waitcnt vmcnt(3)
	v_add_f64 v[34:35], v[9:10], -v[1:2]
	v_add_f64 v[36:37], v[11:12], -v[3:4]
	s_waitcnt vmcnt(1)
	v_add_f64 v[48:49], v[15:16], -v[27:28]
	v_add_f64 v[40:41], v[13:14], -v[25:26]
	;; [unrolled: 1-line block ×4, first 2 shown]
	s_waitcnt vmcnt(0)
	v_add_f64 v[42:43], v[19:20], -v[31:32]
	v_add_f64 v[31:32], v[17:18], -v[29:30]
	s_mov_b32 s20, 0x667f3bcd
	s_mov_b32 s21, 0x3fe6a09e
	v_add_f64 v[25:26], v[34:35], -v[48:49]
	v_add_f64 v[29:30], v[40:41], v[36:37]
	s_mov_b32 s23, 0xbfe6a09e
	s_mov_b32 s22, s20
	v_add_f64 v[44:45], v[27:28], -v[42:43]
	v_add_f64 v[46:47], v[31:32], v[38:39]
	v_lshlrev_b32_e32 v53, 4, v52
	v_fma_f64 v[1:2], v[44:45], s[20:21], v[25:26]
	v_fma_f64 v[3:4], v[46:47], s[20:21], v[29:30]
	;; [unrolled: 1-line block ×4, first 2 shown]
	v_fma_f64 v[1:2], v[25:26], 2.0, -v[21:22]
	v_fma_f64 v[3:4], v[29:30], 2.0, -v[23:24]
	s_and_saveexec_b64 s[4:5], s[2:3]
	s_cbranch_execz .LBB0_18
; %bb.17:
	v_fma_f64 v[11:12], v[11:12], 2.0, -v[36:37]
	v_fma_f64 v[15:16], v[15:16], 2.0, -v[48:49]
	;; [unrolled: 1-line block ×12, first 2 shown]
	v_add_f64 v[34:35], v[11:12], -v[15:16]
	v_add_f64 v[15:16], v[7:8], -v[19:20]
	;; [unrolled: 1-line block ×4, first 2 shown]
	v_fma_f64 v[17:18], v[31:32], s[22:23], v[29:30]
	v_fma_f64 v[19:20], v[27:28], s[22:23], v[25:26]
	v_fma_f64 v[38:39], v[11:12], 2.0, -v[34:35]
	v_fma_f64 v[40:41], v[7:8], 2.0, -v[15:16]
	v_fma_f64 v[42:43], v[9:10], 2.0, -v[36:37]
	v_fma_f64 v[44:45], v[5:6], 2.0, -v[13:14]
	v_add_f64 v[7:8], v[13:14], v[34:35]
	v_fma_f64 v[11:12], v[27:28], s[20:21], v[17:18]
	v_add_f64 v[5:6], v[36:37], -v[15:16]
	v_fma_f64 v[9:10], v[31:32], s[22:23], v[19:20]
	v_add_f64 v[15:16], v[38:39], -v[40:41]
	v_add_f64 v[13:14], v[42:43], -v[44:45]
	v_fma_f64 v[19:20], v[34:35], 2.0, -v[7:8]
	v_fma_f64 v[27:28], v[29:30], 2.0, -v[11:12]
	;; [unrolled: 1-line block ×4, first 2 shown]
	v_lshlrev_b32_e32 v34, 10, v50
	v_fma_f64 v[31:32], v[38:39], 2.0, -v[15:16]
	v_add3_u32 v34, 0, v34, v53
	v_fma_f64 v[29:30], v[42:43], 2.0, -v[13:14]
	ds_write_b128 v34, v[1:4] offset:384
	ds_write_b128 v34, v[25:28] offset:128
	;; [unrolled: 1-line block ×4, first 2 shown]
	ds_write_b128 v34, v[29:32]
	ds_write_b128 v34, v[9:12] offset:640
	ds_write_b128 v34, v[5:8] offset:768
	;; [unrolled: 1-line block ×3, first 2 shown]
.LBB0_18:
	s_or_b64 exec, exec, s[4:5]
	v_bfe_u32 v28, v0, 3, 3
	v_lshlrev_b32_e32 v13, 5, v28
	s_waitcnt lgkmcnt(0)
	s_barrier
	global_load_dwordx4 v[5:8], v13, s[18:19]
	global_load_dwordx4 v[9:12], v13, s[18:19] offset:16
	v_lshlrev_b32_e32 v13, 7, v50
	v_add3_u32 v17, 0, v13, v53
	ds_read_b128 v[13:16], v17 offset:4096
	ds_read_b128 v[18:21], v17 offset:8192
	s_mov_b32 s2, 0xe8584caa
	s_mov_b32 s3, 0x3febb67a
	;; [unrolled: 1-line block ×4, first 2 shown]
	v_lshrrev_b32_e32 v29, 6, v0
	v_mul_u32_u24_e32 v29, 24, v29
	s_movk_i32 s20, 0xc0
	s_waitcnt vmcnt(1) lgkmcnt(1)
	v_mul_f64 v[22:23], v[15:16], v[7:8]
	s_waitcnt vmcnt(0) lgkmcnt(0)
	v_mul_f64 v[24:25], v[20:21], v[11:12]
	v_mul_f64 v[7:8], v[13:14], v[7:8]
	;; [unrolled: 1-line block ×3, first 2 shown]
	v_fma_f64 v[13:14], v[13:14], v[5:6], -v[22:23]
	v_fma_f64 v[18:19], v[18:19], v[9:10], -v[24:25]
	v_fma_f64 v[15:16], v[15:16], v[5:6], v[7:8]
	v_fma_f64 v[9:10], v[20:21], v[9:10], v[11:12]
	ds_read_b128 v[5:8], v17
	s_waitcnt lgkmcnt(0)
	s_barrier
	v_add_f64 v[11:12], v[13:14], v[18:19]
	v_add_f64 v[22:23], v[5:6], v[13:14]
	;; [unrolled: 1-line block ×3, first 2 shown]
	v_add_f64 v[24:25], v[15:16], -v[9:10]
	v_add_f64 v[15:16], v[7:8], v[15:16]
	v_add_f64 v[26:27], v[13:14], -v[18:19]
	v_fma_f64 v[11:12], v[11:12], -0.5, v[5:6]
	v_add_f64 v[5:6], v[22:23], v[18:19]
	v_fma_f64 v[20:21], v[20:21], -0.5, v[7:8]
	v_or_b32_e32 v18, v29, v28
	v_add_f64 v[7:8], v[15:16], v[9:10]
	v_lshlrev_b32_e32 v18, 7, v18
	v_add3_u32 v18, 0, v18, v53
	v_fma_f64 v[13:14], v[24:25], s[2:3], v[11:12]
	v_fma_f64 v[9:10], v[24:25], s[4:5], v[11:12]
	;; [unrolled: 1-line block ×4, first 2 shown]
	v_cmp_gt_u32_e64 s[2:3], s20, v0
	ds_write_b128 v18, v[5:8]
	ds_write_b128 v18, v[13:16] offset:1024
	ds_write_b128 v18, v[9:12] offset:2048
	s_waitcnt lgkmcnt(0)
	s_barrier
	s_and_saveexec_b64 s[4:5], s[2:3]
	s_cbranch_execz .LBB0_20
; %bb.19:
	ds_read_b128 v[5:8], v17
	ds_read_b128 v[13:16], v17 offset:3072
	ds_read_b128 v[9:12], v17 offset:6144
	;; [unrolled: 1-line block ×3, first 2 shown]
.LBB0_20:
	s_or_b64 exec, exec, s[4:5]
	v_mul_lo_u16_e32 v0, 11, v50
	v_mov_b32_e32 v17, 24
	v_mul_lo_u16_sdwa v0, v0, v17 dst_sel:DWORD dst_unused:UNUSED_PAD src0_sel:BYTE_1 src1_sel:DWORD
	v_sub_u16_e32 v0, v50, v0
	v_and_b32_e32 v0, 0xff, v0
	v_mul_u32_u24_e32 v17, 3, v0
	v_lshlrev_b32_e32 v25, 4, v17
	global_load_dwordx4 v[17:20], v25, s[18:19] offset:256
	global_load_dwordx4 v[21:24], v25, s[18:19] offset:272
	v_add_u32_e32 v26, 24, v0
	v_add_u32_e32 v27, 48, v0
	v_mul_lo_u32 v30, v33, v26
	v_mul_lo_u32 v31, v33, v27
	global_load_dwordx4 v[25:28], v25, s[18:19] offset:288
	v_mul_lo_u32 v29, v33, v0
	v_mov_b32_e32 v49, 4
	v_mov_b32_e32 v55, 0x1000
	v_add_u32_e32 v0, 0x48, v0
	v_lshlrev_b32_sdwa v37, v49, v29 dst_sel:DWORD dst_unused:UNUSED_PAD src0_sel:DWORD src1_sel:BYTE_0
	v_bfe_u32 v29, v29, 8, 8
	v_mul_lo_u32 v0, v33, v0
	v_lshl_or_b32 v38, v29, 4, v55
	v_lshlrev_b32_sdwa v47, v49, v30 dst_sel:DWORD dst_unused:UNUSED_PAD src0_sel:DWORD src1_sel:BYTE_0
	v_bfe_u32 v39, v30, 8, 8
	v_lshlrev_b32_sdwa v56, v49, v31 dst_sel:DWORD dst_unused:UNUSED_PAD src0_sel:DWORD src1_sel:BYTE_0
	v_bfe_u32 v40, v31, 8, 8
	global_load_dwordx4 v[29:32], v37, s[12:13]
	global_load_dwordx4 v[33:36], v38, s[12:13]
	v_lshl_or_b32 v48, v39, 4, v55
	v_lshl_or_b32 v57, v40, 4, v55
	global_load_dwordx4 v[37:40], v47, s[12:13]
	global_load_dwordx4 v[41:44], v48, s[12:13]
	v_lshlrev_b32_sdwa v49, v49, v0 dst_sel:DWORD dst_unused:UNUSED_PAD src0_sel:DWORD src1_sel:BYTE_0
	v_bfe_u32 v0, v0, 8, 8
	v_lshl_or_b32 v0, v0, 4, v55
	s_waitcnt vmcnt(6) lgkmcnt(2)
	v_mul_f64 v[45:46], v[15:16], v[19:20]
	v_mul_f64 v[19:20], v[13:14], v[19:20]
	s_waitcnt vmcnt(5) lgkmcnt(1)
	v_mul_f64 v[47:48], v[11:12], v[23:24]
	v_mul_f64 v[23:24], v[9:10], v[23:24]
	v_fma_f64 v[45:46], v[13:14], v[17:18], -v[45:46]
	v_fma_f64 v[53:54], v[15:16], v[17:18], v[19:20]
	global_load_dwordx4 v[13:16], v56, s[12:13]
	global_load_dwordx4 v[17:20], v57, s[12:13]
	v_fma_f64 v[47:48], v[9:10], v[21:22], -v[47:48]
	v_fma_f64 v[55:56], v[11:12], v[21:22], v[23:24]
	global_load_dwordx4 v[9:12], v49, s[12:13]
	global_load_dwordx4 v[21:24], v0, s[12:13]
	s_waitcnt vmcnt(8) lgkmcnt(0)
	v_mul_f64 v[57:58], v[1:2], v[27:28]
	v_mul_f64 v[27:28], v[3:4], v[27:28]
	s_and_b64 s[12:13], s[2:3], vcc
	v_add_f64 v[47:48], v[5:6], -v[47:48]
	v_add_f64 v[55:56], v[7:8], -v[55:56]
	v_fma_f64 v[3:4], v[3:4], v[25:26], v[57:58]
	v_fma_f64 v[0:1], v[1:2], v[25:26], -v[27:28]
	s_waitcnt vmcnt(6)
	v_mul_f64 v[25:26], v[31:32], v[35:36]
	v_mul_f64 v[27:28], v[29:30], v[35:36]
	s_waitcnt vmcnt(4)
	v_mul_f64 v[35:36], v[39:40], v[43:44]
	v_mul_f64 v[43:44], v[37:38], v[43:44]
	v_add_f64 v[2:3], v[53:54], -v[3:4]
	v_add_f64 v[0:1], v[45:46], -v[0:1]
	v_fma_f64 v[25:26], v[29:30], v[33:34], -v[25:26]
	v_fma_f64 v[27:28], v[31:32], v[33:34], v[27:28]
	v_fma_f64 v[4:5], v[5:6], 2.0, -v[47:48]
	v_fma_f64 v[6:7], v[7:8], 2.0, -v[55:56]
	;; [unrolled: 1-line block ×4, first 2 shown]
	v_add_f64 v[45:46], v[55:56], v[0:1]
	v_add_f64 v[0:1], v[47:48], -v[2:3]
	v_add_f64 v[29:30], v[6:7], -v[29:30]
	;; [unrolled: 1-line block ×3, first 2 shown]
	s_waitcnt vmcnt(2)
	v_mul_f64 v[57:58], v[15:16], v[19:20]
	v_mul_f64 v[19:20], v[13:14], v[19:20]
	s_waitcnt vmcnt(0)
	v_mul_f64 v[33:34], v[9:10], v[23:24]
	v_mul_f64 v[2:3], v[11:12], v[23:24]
	v_fma_f64 v[23:24], v[37:38], v[41:42], -v[35:36]
	v_fma_f64 v[35:36], v[39:40], v[41:42], v[43:44]
	v_fma_f64 v[37:38], v[47:48], 2.0, -v[0:1]
	v_fma_f64 v[13:14], v[13:14], v[17:18], -v[57:58]
	v_fma_f64 v[15:16], v[15:16], v[17:18], v[19:20]
	v_fma_f64 v[17:18], v[6:7], 2.0, -v[29:30]
	v_fma_f64 v[11:12], v[11:12], v[21:22], v[33:34]
	v_fma_f64 v[33:34], v[55:56], 2.0, -v[45:46]
	v_fma_f64 v[19:20], v[4:5], 2.0, -v[31:32]
	v_fma_f64 v[2:3], v[9:10], v[21:22], -v[2:3]
	v_mul_f64 v[21:22], v[37:38], v[35:36]
	v_mul_f64 v[39:40], v[17:18], v[27:28]
	;; [unrolled: 1-line block ×8, first 2 shown]
	v_fma_f64 v[10:11], v[33:34], v[23:24], v[21:22]
	v_fma_f64 v[0:1], v[0:1], v[2:3], -v[4:5]
	v_fma_f64 v[8:9], v[37:38], v[23:24], -v[6:7]
	;; [unrolled: 1-line block ×3, first 2 shown]
	v_fma_f64 v[6:7], v[29:30], v[13:14], v[15:16]
	v_fma_f64 v[12:13], v[19:20], v[25:26], -v[39:40]
	v_fma_f64 v[14:15], v[17:18], v[25:26], v[27:28]
	v_fma_f64 v[2:3], v[45:46], v[2:3], v[41:42]
	v_add_u32_e32 v16, 48, v50
	s_and_saveexec_b64 s[4:5], s[12:13]
	s_cbranch_execz .LBB0_22
; %bb.21:
	v_mad_u64_u32 v[17:18], s[12:13], s10, v52, 0
	v_mad_u64_u32 v[19:20], s[12:13], s8, v50, 0
	v_add_u32_e32 v25, 0x48, v50
	v_mad_u64_u32 v[21:22], s[12:13], s11, v52, v[18:19]
	v_mov_b32_e32 v18, v20
	v_mad_u64_u32 v[22:23], s[12:13], s9, v50, v[18:19]
	s_lshl_b64 s[12:13], s[6:7], 4
	s_add_u32 s18, s16, s12
	s_addc_u32 s12, s17, s13
	v_mov_b32_e32 v18, v21
	v_mov_b32_e32 v20, v22
	v_mov_b32_e32 v23, s12
	v_mad_u64_u32 v[21:22], s[12:13], s8, v51, 0
	v_lshlrev_b64 v[17:18], 4, v[17:18]
	v_add_co_u32_e32 v24, vcc, s18, v17
	v_addc_co_u32_e32 v23, vcc, v23, v18, vcc
	v_lshlrev_b64 v[17:18], 4, v[19:20]
	v_mov_b32_e32 v19, v22
	v_mad_u64_u32 v[19:20], s[12:13], s9, v51, v[19:20]
	v_add_co_u32_e32 v17, vcc, v24, v17
	v_mov_b32_e32 v22, v19
	v_mad_u64_u32 v[19:20], s[12:13], s8, v16, 0
	v_addc_co_u32_e32 v18, vcc, v23, v18, vcc
	global_store_dwordx4 v[17:18], v[12:15], off
	v_lshlrev_b64 v[17:18], 4, v[21:22]
	v_mad_u64_u32 v[20:21], s[12:13], s9, v16, v[20:21]
	v_mad_u64_u32 v[21:22], s[12:13], s8, v25, 0
	v_add_co_u32_e32 v17, vcc, v24, v17
	v_addc_co_u32_e32 v18, vcc, v23, v18, vcc
	global_store_dwordx4 v[17:18], v[8:11], off
	v_lshlrev_b64 v[17:18], 4, v[19:20]
	v_mov_b32_e32 v19, v22
	v_mad_u64_u32 v[19:20], s[12:13], s9, v25, v[19:20]
	v_add_co_u32_e32 v17, vcc, v24, v17
	v_addc_co_u32_e32 v18, vcc, v23, v18, vcc
	v_mov_b32_e32 v22, v19
	global_store_dwordx4 v[17:18], v[4:7], off
	v_lshlrev_b64 v[17:18], 4, v[21:22]
	v_add_co_u32_e32 v17, vcc, v24, v17
	v_addc_co_u32_e32 v18, vcc, v23, v18, vcc
	global_store_dwordx4 v[17:18], v[0:3], off
.LBB0_22:
	s_or_b64 exec, exec, s[4:5]
	s_and_b64 s[0:1], s[2:3], s[0:1]
	s_and_b64 s[0:1], s[14:15], s[0:1]
	s_and_saveexec_b64 s[2:3], s[0:1]
	s_cbranch_execz .LBB0_24
; %bb.23:
	v_mad_u64_u32 v[17:18], s[0:1], s10, v52, 0
	v_mad_u64_u32 v[19:20], s[0:1], s8, v50, 0
	;; [unrolled: 1-line block ×3, first 2 shown]
	v_mov_b32_e32 v18, v20
	v_mad_u64_u32 v[22:23], s[0:1], s9, v50, v[18:19]
	v_mov_b32_e32 v18, v21
	s_lshl_b64 s[0:1], s[6:7], 4
	s_add_u32 s2, s16, s0
	v_lshlrev_b64 v[17:18], 4, v[17:18]
	s_addc_u32 s0, s17, s1
	v_mov_b32_e32 v20, v22
	v_mov_b32_e32 v23, s0
	v_mad_u64_u32 v[21:22], s[0:1], s8, v51, 0
	v_add_co_u32_e32 v24, vcc, s2, v17
	v_addc_co_u32_e32 v23, vcc, v23, v18, vcc
	v_lshlrev_b64 v[17:18], 4, v[19:20]
	v_mov_b32_e32 v19, v22
	v_add_co_u32_e32 v17, vcc, v24, v17
	v_addc_co_u32_e32 v18, vcc, v23, v18, vcc
	v_mad_u64_u32 v[19:20], s[0:1], s9, v51, v[19:20]
	global_store_dwordx4 v[17:18], v[12:15], off
	v_add_u32_e32 v18, 0x48, v50
	v_mad_u64_u32 v[14:15], s[0:1], s8, v16, 0
	v_mov_b32_e32 v22, v19
	v_lshlrev_b64 v[12:13], 4, v[21:22]
	v_mad_u64_u32 v[15:16], s[0:1], s9, v16, v[15:16]
	v_mad_u64_u32 v[16:17], s[0:1], s8, v18, 0
	v_add_co_u32_e32 v12, vcc, v24, v12
	v_addc_co_u32_e32 v13, vcc, v23, v13, vcc
	global_store_dwordx4 v[12:13], v[8:11], off
	s_nop 0
	v_mov_b32_e32 v10, v17
	v_mad_u64_u32 v[10:11], s[0:1], s9, v18, v[10:11]
	v_lshlrev_b64 v[8:9], 4, v[14:15]
	v_add_co_u32_e32 v8, vcc, v24, v8
	v_addc_co_u32_e32 v9, vcc, v23, v9, vcc
	v_mov_b32_e32 v17, v10
	global_store_dwordx4 v[8:9], v[4:7], off
	s_nop 0
	v_lshlrev_b64 v[4:5], 4, v[16:17]
	v_add_co_u32_e32 v4, vcc, v24, v4
	v_addc_co_u32_e32 v5, vcc, v23, v5, vcc
	global_store_dwordx4 v[4:5], v[0:3], off
.LBB0_24:
	s_endpgm
	.section	.rodata,"a",@progbits
	.p2align	6, 0x0
	.amdhsa_kernel fft_rtc_fwd_len96_factors_8_3_4_wgs_256_tpt_32_dp_ip_CI_sbcc_twdbase8_2step_dirReg
		.amdhsa_group_segment_fixed_size 0
		.amdhsa_private_segment_fixed_size 0
		.amdhsa_kernarg_size 96
		.amdhsa_user_sgpr_count 6
		.amdhsa_user_sgpr_private_segment_buffer 1
		.amdhsa_user_sgpr_dispatch_ptr 0
		.amdhsa_user_sgpr_queue_ptr 0
		.amdhsa_user_sgpr_kernarg_segment_ptr 1
		.amdhsa_user_sgpr_dispatch_id 0
		.amdhsa_user_sgpr_flat_scratch_init 0
		.amdhsa_user_sgpr_private_segment_size 0
		.amdhsa_uses_dynamic_stack 0
		.amdhsa_system_sgpr_private_segment_wavefront_offset 0
		.amdhsa_system_sgpr_workgroup_id_x 1
		.amdhsa_system_sgpr_workgroup_id_y 0
		.amdhsa_system_sgpr_workgroup_id_z 0
		.amdhsa_system_sgpr_workgroup_info 0
		.amdhsa_system_vgpr_workitem_id 0
		.amdhsa_next_free_vgpr 59
		.amdhsa_next_free_sgpr 45
		.amdhsa_reserve_vcc 1
		.amdhsa_reserve_flat_scratch 0
		.amdhsa_float_round_mode_32 0
		.amdhsa_float_round_mode_16_64 0
		.amdhsa_float_denorm_mode_32 3
		.amdhsa_float_denorm_mode_16_64 3
		.amdhsa_dx10_clamp 1
		.amdhsa_ieee_mode 1
		.amdhsa_fp16_overflow 0
		.amdhsa_exception_fp_ieee_invalid_op 0
		.amdhsa_exception_fp_denorm_src 0
		.amdhsa_exception_fp_ieee_div_zero 0
		.amdhsa_exception_fp_ieee_overflow 0
		.amdhsa_exception_fp_ieee_underflow 0
		.amdhsa_exception_fp_ieee_inexact 0
		.amdhsa_exception_int_div_zero 0
	.end_amdhsa_kernel
	.text
.Lfunc_end0:
	.size	fft_rtc_fwd_len96_factors_8_3_4_wgs_256_tpt_32_dp_ip_CI_sbcc_twdbase8_2step_dirReg, .Lfunc_end0-fft_rtc_fwd_len96_factors_8_3_4_wgs_256_tpt_32_dp_ip_CI_sbcc_twdbase8_2step_dirReg
                                        ; -- End function
	.section	.AMDGPU.csdata,"",@progbits
; Kernel info:
; codeLenInByte = 4644
; NumSgprs: 49
; NumVgprs: 59
; ScratchSize: 0
; MemoryBound: 1
; FloatMode: 240
; IeeeMode: 1
; LDSByteSize: 0 bytes/workgroup (compile time only)
; SGPRBlocks: 6
; VGPRBlocks: 14
; NumSGPRsForWavesPerEU: 49
; NumVGPRsForWavesPerEU: 59
; Occupancy: 4
; WaveLimiterHint : 1
; COMPUTE_PGM_RSRC2:SCRATCH_EN: 0
; COMPUTE_PGM_RSRC2:USER_SGPR: 6
; COMPUTE_PGM_RSRC2:TRAP_HANDLER: 0
; COMPUTE_PGM_RSRC2:TGID_X_EN: 1
; COMPUTE_PGM_RSRC2:TGID_Y_EN: 0
; COMPUTE_PGM_RSRC2:TGID_Z_EN: 0
; COMPUTE_PGM_RSRC2:TIDIG_COMP_CNT: 0
	.type	__hip_cuid_671dff8c102958c9,@object ; @__hip_cuid_671dff8c102958c9
	.section	.bss,"aw",@nobits
	.globl	__hip_cuid_671dff8c102958c9
__hip_cuid_671dff8c102958c9:
	.byte	0                               ; 0x0
	.size	__hip_cuid_671dff8c102958c9, 1

	.ident	"AMD clang version 19.0.0git (https://github.com/RadeonOpenCompute/llvm-project roc-6.4.0 25133 c7fe45cf4b819c5991fe208aaa96edf142730f1d)"
	.section	".note.GNU-stack","",@progbits
	.addrsig
	.addrsig_sym __hip_cuid_671dff8c102958c9
	.amdgpu_metadata
---
amdhsa.kernels:
  - .args:
      - .actual_access:  read_only
        .address_space:  global
        .offset:         0
        .size:           8
        .value_kind:     global_buffer
      - .address_space:  global
        .offset:         8
        .size:           8
        .value_kind:     global_buffer
      - .offset:         16
        .size:           8
        .value_kind:     by_value
      - .actual_access:  read_only
        .address_space:  global
        .offset:         24
        .size:           8
        .value_kind:     global_buffer
      - .actual_access:  read_only
        .address_space:  global
        .offset:         32
        .size:           8
        .value_kind:     global_buffer
      - .offset:         40
        .size:           8
        .value_kind:     by_value
      - .actual_access:  read_only
        .address_space:  global
        .offset:         48
        .size:           8
        .value_kind:     global_buffer
      - .actual_access:  read_only
        .address_space:  global
        .offset:         56
        .size:           8
        .value_kind:     global_buffer
      - .offset:         64
        .size:           4
        .value_kind:     by_value
      - .actual_access:  read_only
        .address_space:  global
        .offset:         72
        .size:           8
        .value_kind:     global_buffer
      - .actual_access:  read_only
        .address_space:  global
        .offset:         80
        .size:           8
        .value_kind:     global_buffer
      - .address_space:  global
        .offset:         88
        .size:           8
        .value_kind:     global_buffer
    .group_segment_fixed_size: 0
    .kernarg_segment_align: 8
    .kernarg_segment_size: 96
    .language:       OpenCL C
    .language_version:
      - 2
      - 0
    .max_flat_workgroup_size: 256
    .name:           fft_rtc_fwd_len96_factors_8_3_4_wgs_256_tpt_32_dp_ip_CI_sbcc_twdbase8_2step_dirReg
    .private_segment_fixed_size: 0
    .sgpr_count:     49
    .sgpr_spill_count: 0
    .symbol:         fft_rtc_fwd_len96_factors_8_3_4_wgs_256_tpt_32_dp_ip_CI_sbcc_twdbase8_2step_dirReg.kd
    .uniform_work_group_size: 1
    .uses_dynamic_stack: false
    .vgpr_count:     59
    .vgpr_spill_count: 0
    .wavefront_size: 64
amdhsa.target:   amdgcn-amd-amdhsa--gfx906
amdhsa.version:
  - 1
  - 2
...

	.end_amdgpu_metadata
